;; amdgpu-corpus repo=ROCm/rocFFT kind=compiled arch=gfx906 opt=O3
	.text
	.amdgcn_target "amdgcn-amd-amdhsa--gfx906"
	.amdhsa_code_object_version 6
	.protected	fft_rtc_back_len192_factors_6_4_4_2_wgs_128_tpt_16_halfLds_dp_op_CI_CI_unitstride_sbrr_R2C_dirReg ; -- Begin function fft_rtc_back_len192_factors_6_4_4_2_wgs_128_tpt_16_halfLds_dp_op_CI_CI_unitstride_sbrr_R2C_dirReg
	.globl	fft_rtc_back_len192_factors_6_4_4_2_wgs_128_tpt_16_halfLds_dp_op_CI_CI_unitstride_sbrr_R2C_dirReg
	.p2align	8
	.type	fft_rtc_back_len192_factors_6_4_4_2_wgs_128_tpt_16_halfLds_dp_op_CI_CI_unitstride_sbrr_R2C_dirReg,@function
fft_rtc_back_len192_factors_6_4_4_2_wgs_128_tpt_16_halfLds_dp_op_CI_CI_unitstride_sbrr_R2C_dirReg: ; @fft_rtc_back_len192_factors_6_4_4_2_wgs_128_tpt_16_halfLds_dp_op_CI_CI_unitstride_sbrr_R2C_dirReg
; %bb.0:
	s_load_dwordx4 s[8:11], s[4:5], 0x58
	s_load_dwordx4 s[12:15], s[4:5], 0x0
	;; [unrolled: 1-line block ×3, first 2 shown]
	v_lshrrev_b32_e32 v7, 4, v0
	v_mov_b32_e32 v1, 0
	v_mov_b32_e32 v18, 0
	s_waitcnt lgkmcnt(0)
	v_cmp_lt_u64_e64 s[0:1], s[14:15], 2
	v_lshl_or_b32 v3, s6, 3, v7
	v_mov_b32_e32 v4, v1
	s_and_b64 vcc, exec, s[0:1]
	v_mov_b32_e32 v19, 0
	s_cbranch_vccnz .LBB0_8
; %bb.1:
	s_load_dwordx2 s[0:1], s[4:5], 0x10
	s_add_u32 s2, s18, 8
	s_addc_u32 s3, s19, 0
	s_add_u32 s6, s16, 8
	s_addc_u32 s7, s17, 0
	v_mov_b32_e32 v18, 0
	s_waitcnt lgkmcnt(0)
	s_add_u32 s20, s0, 8
	v_mov_b32_e32 v19, 0
	v_mov_b32_e32 v8, v18
	s_addc_u32 s21, s1, 0
	s_mov_b64 s[22:23], 1
	v_mov_b32_e32 v9, v19
.LBB0_2:                                ; =>This Inner Loop Header: Depth=1
	s_load_dwordx2 s[24:25], s[20:21], 0x0
                                        ; implicit-def: $vgpr12_vgpr13
	s_waitcnt lgkmcnt(0)
	v_or_b32_e32 v2, s25, v4
	v_cmp_ne_u64_e32 vcc, 0, v[1:2]
	s_and_saveexec_b64 s[0:1], vcc
	s_xor_b64 s[26:27], exec, s[0:1]
	s_cbranch_execz .LBB0_4
; %bb.3:                                ;   in Loop: Header=BB0_2 Depth=1
	v_cvt_f32_u32_e32 v2, s24
	v_cvt_f32_u32_e32 v5, s25
	s_sub_u32 s0, 0, s24
	s_subb_u32 s1, 0, s25
	v_mac_f32_e32 v2, 0x4f800000, v5
	v_rcp_f32_e32 v2, v2
	v_mul_f32_e32 v2, 0x5f7ffffc, v2
	v_mul_f32_e32 v5, 0x2f800000, v2
	v_trunc_f32_e32 v5, v5
	v_mac_f32_e32 v2, 0xcf800000, v5
	v_cvt_u32_f32_e32 v5, v5
	v_cvt_u32_f32_e32 v2, v2
	v_mul_lo_u32 v6, s0, v5
	v_mul_hi_u32 v10, s0, v2
	v_mul_lo_u32 v12, s1, v2
	v_mul_lo_u32 v11, s0, v2
	v_add_u32_e32 v6, v10, v6
	v_add_u32_e32 v6, v6, v12
	v_mul_hi_u32 v10, v2, v11
	v_mul_lo_u32 v12, v2, v6
	v_mul_hi_u32 v14, v2, v6
	v_mul_hi_u32 v13, v5, v11
	v_mul_lo_u32 v11, v5, v11
	v_mul_hi_u32 v15, v5, v6
	v_add_co_u32_e32 v10, vcc, v10, v12
	v_addc_co_u32_e32 v12, vcc, 0, v14, vcc
	v_mul_lo_u32 v6, v5, v6
	v_add_co_u32_e32 v10, vcc, v10, v11
	v_addc_co_u32_e32 v10, vcc, v12, v13, vcc
	v_addc_co_u32_e32 v11, vcc, 0, v15, vcc
	v_add_co_u32_e32 v6, vcc, v10, v6
	v_addc_co_u32_e32 v10, vcc, 0, v11, vcc
	v_add_co_u32_e32 v2, vcc, v2, v6
	v_addc_co_u32_e32 v5, vcc, v5, v10, vcc
	v_mul_lo_u32 v6, s0, v5
	v_mul_hi_u32 v10, s0, v2
	v_mul_lo_u32 v11, s1, v2
	v_mul_lo_u32 v12, s0, v2
	v_add_u32_e32 v6, v10, v6
	v_add_u32_e32 v6, v6, v11
	v_mul_lo_u32 v13, v2, v6
	v_mul_hi_u32 v14, v2, v12
	v_mul_hi_u32 v15, v2, v6
	v_mul_hi_u32 v11, v5, v12
	v_mul_lo_u32 v12, v5, v12
	v_mul_hi_u32 v10, v5, v6
	v_add_co_u32_e32 v13, vcc, v14, v13
	v_addc_co_u32_e32 v14, vcc, 0, v15, vcc
	v_mul_lo_u32 v6, v5, v6
	v_add_co_u32_e32 v12, vcc, v13, v12
	v_addc_co_u32_e32 v11, vcc, v14, v11, vcc
	v_addc_co_u32_e32 v10, vcc, 0, v10, vcc
	v_add_co_u32_e32 v6, vcc, v11, v6
	v_addc_co_u32_e32 v10, vcc, 0, v10, vcc
	v_add_co_u32_e32 v2, vcc, v2, v6
	v_addc_co_u32_e32 v10, vcc, v5, v10, vcc
	v_mad_u64_u32 v[5:6], s[0:1], v3, v10, 0
	v_mul_hi_u32 v11, v3, v2
	v_add_co_u32_e32 v12, vcc, v11, v5
	v_addc_co_u32_e32 v13, vcc, 0, v6, vcc
	v_mad_u64_u32 v[5:6], s[0:1], v4, v2, 0
	v_mad_u64_u32 v[10:11], s[0:1], v4, v10, 0
	v_add_co_u32_e32 v2, vcc, v12, v5
	v_addc_co_u32_e32 v2, vcc, v13, v6, vcc
	v_addc_co_u32_e32 v5, vcc, 0, v11, vcc
	v_add_co_u32_e32 v2, vcc, v2, v10
	v_addc_co_u32_e32 v10, vcc, 0, v5, vcc
	v_mul_lo_u32 v11, s25, v2
	v_mul_lo_u32 v12, s24, v10
	v_mad_u64_u32 v[5:6], s[0:1], s24, v2, 0
	v_add3_u32 v6, v6, v12, v11
	v_sub_u32_e32 v11, v4, v6
	v_mov_b32_e32 v12, s25
	v_sub_co_u32_e32 v5, vcc, v3, v5
	v_subb_co_u32_e64 v11, s[0:1], v11, v12, vcc
	v_subrev_co_u32_e64 v12, s[0:1], s24, v5
	v_subbrev_co_u32_e64 v11, s[0:1], 0, v11, s[0:1]
	v_cmp_le_u32_e64 s[0:1], s25, v11
	v_cndmask_b32_e64 v13, 0, -1, s[0:1]
	v_cmp_le_u32_e64 s[0:1], s24, v12
	v_cndmask_b32_e64 v12, 0, -1, s[0:1]
	v_cmp_eq_u32_e64 s[0:1], s25, v11
	v_cndmask_b32_e64 v11, v13, v12, s[0:1]
	v_add_co_u32_e64 v12, s[0:1], 2, v2
	v_addc_co_u32_e64 v13, s[0:1], 0, v10, s[0:1]
	v_add_co_u32_e64 v14, s[0:1], 1, v2
	v_addc_co_u32_e64 v15, s[0:1], 0, v10, s[0:1]
	v_subb_co_u32_e32 v6, vcc, v4, v6, vcc
	v_cmp_ne_u32_e64 s[0:1], 0, v11
	v_cmp_le_u32_e32 vcc, s25, v6
	v_cndmask_b32_e64 v11, v15, v13, s[0:1]
	v_cndmask_b32_e64 v13, 0, -1, vcc
	v_cmp_le_u32_e32 vcc, s24, v5
	v_cndmask_b32_e64 v5, 0, -1, vcc
	v_cmp_eq_u32_e32 vcc, s25, v6
	v_cndmask_b32_e32 v5, v13, v5, vcc
	v_cmp_ne_u32_e32 vcc, 0, v5
	v_cndmask_b32_e64 v5, v14, v12, s[0:1]
	v_cndmask_b32_e32 v13, v10, v11, vcc
	v_cndmask_b32_e32 v12, v2, v5, vcc
.LBB0_4:                                ;   in Loop: Header=BB0_2 Depth=1
	s_andn2_saveexec_b64 s[0:1], s[26:27]
	s_cbranch_execz .LBB0_6
; %bb.5:                                ;   in Loop: Header=BB0_2 Depth=1
	v_cvt_f32_u32_e32 v2, s24
	s_sub_i32 s26, 0, s24
	v_mov_b32_e32 v13, v1
	v_rcp_iflag_f32_e32 v2, v2
	v_mul_f32_e32 v2, 0x4f7ffffe, v2
	v_cvt_u32_f32_e32 v2, v2
	v_mul_lo_u32 v5, s26, v2
	v_mul_hi_u32 v5, v2, v5
	v_add_u32_e32 v2, v2, v5
	v_mul_hi_u32 v2, v3, v2
	v_mul_lo_u32 v5, v2, s24
	v_add_u32_e32 v6, 1, v2
	v_sub_u32_e32 v5, v3, v5
	v_subrev_u32_e32 v10, s24, v5
	v_cmp_le_u32_e32 vcc, s24, v5
	v_cndmask_b32_e32 v5, v5, v10, vcc
	v_cndmask_b32_e32 v2, v2, v6, vcc
	v_add_u32_e32 v6, 1, v2
	v_cmp_le_u32_e32 vcc, s24, v5
	v_cndmask_b32_e32 v12, v2, v6, vcc
.LBB0_6:                                ;   in Loop: Header=BB0_2 Depth=1
	s_or_b64 exec, exec, s[0:1]
	v_mul_lo_u32 v2, v13, s24
	v_mul_lo_u32 v10, v12, s25
	v_mad_u64_u32 v[5:6], s[0:1], v12, s24, 0
	s_load_dwordx2 s[0:1], s[6:7], 0x0
	s_load_dwordx2 s[24:25], s[2:3], 0x0
	v_add3_u32 v2, v6, v10, v2
	v_sub_co_u32_e32 v3, vcc, v3, v5
	v_subb_co_u32_e32 v2, vcc, v4, v2, vcc
	s_waitcnt lgkmcnt(0)
	v_mul_lo_u32 v4, s0, v2
	v_mul_lo_u32 v5, s1, v3
	v_mad_u64_u32 v[18:19], s[0:1], s0, v3, v[18:19]
	v_mul_lo_u32 v2, s24, v2
	v_mul_lo_u32 v6, s25, v3
	v_mad_u64_u32 v[8:9], s[0:1], s24, v3, v[8:9]
	s_add_u32 s22, s22, 1
	s_addc_u32 s23, s23, 0
	s_add_u32 s2, s2, 8
	v_add3_u32 v9, v6, v9, v2
	s_addc_u32 s3, s3, 0
	v_mov_b32_e32 v2, s14
	s_add_u32 s6, s6, 8
	v_mov_b32_e32 v3, s15
	s_addc_u32 s7, s7, 0
	v_cmp_ge_u64_e32 vcc, s[22:23], v[2:3]
	s_add_u32 s20, s20, 8
	v_add3_u32 v19, v5, v19, v4
	s_addc_u32 s21, s21, 0
	s_cbranch_vccnz .LBB0_9
; %bb.7:                                ;   in Loop: Header=BB0_2 Depth=1
	v_mov_b32_e32 v3, v12
	v_mov_b32_e32 v4, v13
	s_branch .LBB0_2
.LBB0_8:
	v_mov_b32_e32 v8, v18
	v_mov_b32_e32 v13, v4
	;; [unrolled: 1-line block ×4, first 2 shown]
.LBB0_9:
	s_load_dwordx2 s[0:1], s[4:5], 0x28
	s_lshl_b64 s[6:7], s[14:15], 3
	s_add_u32 s2, s18, s6
	s_addc_u32 s3, s19, s7
	v_and_b32_e32 v10, 15, v0
	s_waitcnt lgkmcnt(0)
	v_cmp_gt_u64_e32 vcc, s[0:1], v[12:13]
	v_cmp_le_u64_e64 s[0:1], s[0:1], v[12:13]
                                        ; implicit-def: $vgpr14
                                        ; implicit-def: $vgpr5
                                        ; implicit-def: $vgpr3
                                        ; implicit-def: $vgpr16
                                        ; implicit-def: $vgpr1
	s_and_saveexec_b64 s[4:5], s[0:1]
	s_xor_b64 s[0:1], exec, s[4:5]
	s_cbranch_execz .LBB0_11
; %bb.10:
	v_and_b32_e32 v10, 15, v0
	v_mov_b32_e32 v11, 0
	v_or_b32_e32 v14, 16, v10
	v_or_b32_e32 v5, 48, v10
	;; [unrolled: 1-line block ×5, first 2 shown]
	v_mov_b32_e32 v15, v11
	v_mov_b32_e32 v17, v11
	;; [unrolled: 1-line block ×5, first 2 shown]
                                        ; implicit-def: $vgpr18_vgpr19
.LBB0_11:
	s_or_saveexec_b64 s[4:5], s[0:1]
	v_mul_u32_u24_e32 v0, 0xc1, v7
	v_lshlrev_b32_e32 v7, 4, v0
	s_xor_b64 exec, exec, s[4:5]
	s_cbranch_execz .LBB0_13
; %bb.12:
	s_add_u32 s0, s16, s6
	s_addc_u32 s1, s17, s7
	s_load_dwordx2 s[0:1], s[0:1], 0x0
	v_mov_b32_e32 v6, s9
	v_lshlrev_b64 v[2:3], 4, v[18:19]
	v_mov_b32_e32 v11, 0
	v_or_b32_e32 v14, 16, v10
	s_waitcnt lgkmcnt(0)
	v_mul_lo_u32 v4, s1, v12
	v_mul_lo_u32 v5, s0, v13
	v_mad_u64_u32 v[0:1], s[0:1], s0, v12, 0
	v_or_b32_e32 v16, 32, v10
	v_mov_b32_e32 v15, v11
	v_add3_u32 v1, v1, v5, v4
	v_lshlrev_b64 v[0:1], 4, v[0:1]
	v_or_b32_e32 v5, 48, v10
	v_add_co_u32_e64 v0, s[0:1], s8, v0
	v_addc_co_u32_e64 v1, s[0:1], v6, v1, s[0:1]
	v_add_co_u32_e64 v0, s[0:1], v0, v2
	v_addc_co_u32_e64 v1, s[0:1], v1, v3, s[0:1]
	v_lshlrev_b32_e32 v2, 4, v10
	v_add_co_u32_e64 v0, s[0:1], v0, v2
	v_addc_co_u32_e64 v1, s[0:1], 0, v1, s[0:1]
	global_load_dwordx4 v[18:21], v[0:1], off
	global_load_dwordx4 v[22:25], v[0:1], off offset:256
	global_load_dwordx4 v[26:29], v[0:1], off offset:512
	;; [unrolled: 1-line block ×11, first 2 shown]
	v_or_b32_e32 v3, 64, v10
	v_or_b32_e32 v1, 0x50, v10
	v_add3_u32 v0, 0, v7, v2
	v_mov_b32_e32 v17, v11
	v_mov_b32_e32 v6, v11
	;; [unrolled: 1-line block ×4, first 2 shown]
	s_waitcnt vmcnt(11)
	ds_write_b128 v0, v[18:21]
	s_waitcnt vmcnt(10)
	ds_write_b128 v0, v[22:25] offset:256
	s_waitcnt vmcnt(9)
	ds_write_b128 v0, v[26:29] offset:512
	;; [unrolled: 2-line block ×11, first 2 shown]
.LBB0_13:
	s_or_b64 exec, exec, s[4:5]
	v_lshlrev_b32_e32 v0, 4, v10
	v_add_u32_e32 v31, 0, v7
	v_add3_u32 v7, 0, v0, v7
	s_load_dwordx2 s[2:3], s[2:3], 0x0
	s_waitcnt lgkmcnt(0)
	s_barrier
	v_add_u32_e32 v32, v31, v0
	ds_read_b128 v[18:21], v7 offset:1024
	ds_read_b128 v[22:25], v32
	ds_read_b128 v[26:29], v7 offset:2048
	ds_read_b128 v[33:36], v7 offset:1536
	;; [unrolled: 1-line block ×3, first 2 shown]
	s_mov_b32 s4, 0xe8584caa
	s_mov_b32 s5, 0xbfebb67a
	s_waitcnt lgkmcnt(3)
	v_add_f64 v[41:42], v[22:23], v[18:19]
	v_add_f64 v[43:44], v[24:25], v[20:21]
	s_waitcnt lgkmcnt(0)
	v_add_f64 v[51:52], v[35:36], v[39:40]
	v_add_f64 v[45:46], v[18:19], v[26:27]
	v_add_f64 v[47:48], v[20:21], -v[28:29]
	v_add_f64 v[49:50], v[20:21], v[28:29]
	v_add_f64 v[53:54], v[18:19], -v[26:27]
	ds_read_b128 v[18:21], v7 offset:512
	v_add_f64 v[55:56], v[33:34], v[37:38]
	v_add_f64 v[41:42], v[41:42], v[26:27]
	;; [unrolled: 1-line block ×3, first 2 shown]
	v_add_f64 v[26:27], v[33:34], -v[37:38]
	s_waitcnt lgkmcnt(0)
	v_fma_f64 v[28:29], v[51:52], -0.5, v[20:21]
	s_mov_b32 s1, 0x3febb67a
	s_mov_b32 s0, s4
	v_add_f64 v[33:34], v[18:19], v[33:34]
	v_fma_f64 v[51:52], v[55:56], -0.5, v[18:19]
	v_add_f64 v[18:19], v[20:21], v[35:36]
	v_add_f64 v[35:36], v[35:36], -v[39:40]
	v_fma_f64 v[45:46], v[45:46], -0.5, v[22:23]
	v_fma_f64 v[55:56], v[26:27], s[0:1], v[28:29]
	v_fma_f64 v[26:27], v[26:27], s[4:5], v[28:29]
	v_fma_f64 v[49:50], v[49:50], -0.5, v[24:25]
	v_add_f64 v[33:34], v[33:34], v[37:38]
	ds_read_b128 v[22:25], v7 offset:1280
	v_add_f64 v[37:38], v[18:19], v[39:40]
	v_fma_f64 v[39:40], v[35:36], s[4:5], v[51:52]
	v_fma_f64 v[35:36], v[35:36], s[0:1], v[51:52]
	v_mul_f64 v[28:29], v[55:56], s[4:5]
	v_mul_f64 v[55:56], v[55:56], 0.5
	v_mul_f64 v[51:52], v[26:27], s[4:5]
	v_mul_f64 v[26:27], v[26:27], -0.5
	v_fma_f64 v[59:60], v[47:48], s[4:5], v[45:46]
	v_fma_f64 v[61:62], v[47:48], s[0:1], v[45:46]
	v_fma_f64 v[45:46], v[53:54], s[0:1], v[49:50]
	v_fma_f64 v[53:54], v[53:54], s[4:5], v[49:50]
	v_fma_f64 v[57:58], v[39:40], 0.5, v[28:29]
	v_fma_f64 v[55:56], v[39:40], s[0:1], v[55:56]
	v_fma_f64 v[49:50], v[35:36], -0.5, v[51:52]
	v_fma_f64 v[51:52], v[35:36], s[0:1], v[26:27]
	v_add_f64 v[26:27], v[41:42], v[33:34]
	v_add_f64 v[28:29], v[43:44], v[37:38]
	v_add_f64 v[35:36], v[43:44], -v[37:38]
	ds_read_b128 v[18:21], v7 offset:256
	v_add_f64 v[37:38], v[59:60], v[57:58]
	v_add_f64 v[39:40], v[45:46], v[55:56]
	v_add_f64 v[43:44], v[45:46], -v[55:56]
	v_add_f64 v[45:46], v[61:62], v[49:50]
	v_add_f64 v[47:48], v[53:54], v[51:52]
	v_add_f64 v[33:34], v[41:42], -v[33:34]
	v_add_f64 v[41:42], v[59:60], -v[57:58]
	v_add_f64 v[49:50], v[61:62], -v[49:50]
	v_add_f64 v[51:52], v[53:54], -v[51:52]
	ds_read_b128 v[53:56], v7 offset:2304
	ds_read_b128 v[57:60], v7 offset:768
	;; [unrolled: 1-line block ×4, first 2 shown]
	s_movk_i32 s6, 0x50
	v_mad_u32_u24 v30, v10, s6, v7
	s_waitcnt lgkmcnt(0)
	s_barrier
	ds_write_b128 v30, v[26:29]
	ds_write_b128 v30, v[37:40] offset:16
	ds_write_b128 v30, v[45:48] offset:32
	;; [unrolled: 1-line block ×4, first 2 shown]
	v_add_f64 v[35:36], v[63:64], v[67:68]
	v_add_f64 v[39:40], v[61:62], v[65:66]
	v_add_f64 v[41:42], v[61:62], -v[65:66]
	ds_write_b128 v30, v[49:52] offset:80
	v_add_f64 v[28:29], v[20:21], v[24:25]
	v_add_f64 v[33:34], v[22:23], v[53:54]
	v_add_f64 v[37:38], v[24:25], -v[55:56]
	v_add_f64 v[24:25], v[24:25], v[55:56]
	v_fma_f64 v[35:36], v[35:36], -0.5, v[59:60]
	v_fma_f64 v[39:40], v[39:40], -0.5, v[57:58]
	v_add_f64 v[49:50], v[63:64], -v[67:68]
	v_add_f64 v[26:27], v[18:19], v[22:23]
	v_add_f64 v[43:44], v[57:58], v[61:62]
	;; [unrolled: 1-line block ×3, first 2 shown]
	v_add_f64 v[22:23], v[22:23], -v[53:54]
	v_fma_f64 v[33:34], v[33:34], -0.5, v[18:19]
	v_fma_f64 v[47:48], v[41:42], s[0:1], v[35:36]
	v_fma_f64 v[35:36], v[41:42], s[4:5], v[35:36]
	;; [unrolled: 1-line block ×3, first 2 shown]
	v_fma_f64 v[24:25], v[24:25], -0.5, v[20:21]
	v_fma_f64 v[39:40], v[49:50], s[0:1], v[39:40]
	v_add_f64 v[26:27], v[26:27], v[53:54]
	v_add_f64 v[28:29], v[28:29], v[55:56]
	v_add_f64 v[43:44], v[43:44], v[65:66]
	v_mul_f64 v[41:42], v[47:48], s[4:5]
	v_mul_f64 v[47:48], v[47:48], 0.5
	v_mul_f64 v[49:50], v[35:36], s[4:5]
	v_mul_f64 v[35:36], v[35:36], -0.5
	v_add_f64 v[45:46], v[45:46], v[67:68]
	v_fma_f64 v[53:54], v[22:23], s[0:1], v[24:25]
	v_fma_f64 v[55:56], v[37:38], s[0:1], v[33:34]
	;; [unrolled: 1-line block ×3, first 2 shown]
	v_fma_f64 v[41:42], v[51:52], 0.5, v[41:42]
	v_fma_f64 v[47:48], v[51:52], s[0:1], v[47:48]
	v_fma_f64 v[51:52], v[37:38], s[4:5], v[33:34]
	v_fma_f64 v[49:50], v[39:40], -0.5, v[49:50]
	v_fma_f64 v[59:60], v[39:40], s[0:1], v[35:36]
	v_add_f64 v[19:20], v[26:27], v[43:44]
	v_add_f64 v[21:22], v[28:29], v[45:46]
	v_add_f64 v[23:24], v[26:27], -v[43:44]
	v_add_f64 v[25:26], v[28:29], -v[45:46]
	v_add_f64 v[29:30], v[53:54], v[47:48]
	v_add_f64 v[27:28], v[51:52], v[41:42]
	;; [unrolled: 1-line block ×4, first 2 shown]
	v_add_f64 v[33:34], v[51:52], -v[41:42]
	v_add_f64 v[35:36], v[53:54], -v[47:48]
	;; [unrolled: 1-line block ×4, first 2 shown]
	v_mul_i32_i24_e32 v18, 6, v14
	v_lshl_add_u32 v18, v18, 4, v31
	s_movk_i32 s0, 0xab
	ds_write_b128 v18, v[19:22]
	ds_write_b128 v18, v[27:30] offset:16
	ds_write_b128 v18, v[37:40] offset:32
	;; [unrolled: 1-line block ×5, first 2 shown]
	v_mul_lo_u16_sdwa v19, v10, s0 dst_sel:DWORD dst_unused:UNUSED_PAD src0_sel:BYTE_0 src1_sel:DWORD
	v_lshrrev_b16_e32 v77, 10, v19
	v_mul_lo_u16_e32 v19, 6, v77
	v_sub_u16_e32 v78, v10, v19
	v_mul_lo_u16_e32 v19, 3, v78
	v_mov_b32_e32 v63, 4
	v_lshlrev_b32_sdwa v33, v63, v19 dst_sel:DWORD dst_unused:UNUSED_PAD src0_sel:DWORD src1_sel:BYTE_0
	s_waitcnt lgkmcnt(0)
	s_barrier
	global_load_dwordx4 v[19:22], v33, s[12:13]
	global_load_dwordx4 v[23:26], v33, s[12:13] offset:16
	global_load_dwordx4 v[27:30], v33, s[12:13] offset:32
	v_mul_lo_u16_sdwa v33, v14, s0 dst_sel:DWORD dst_unused:UNUSED_PAD src0_sel:BYTE_0 src1_sel:DWORD
	v_lshrrev_b16_e32 v79, 10, v33
	v_mul_lo_u16_e32 v33, 6, v79
	v_sub_u16_e32 v80, v14, v33
	v_mul_lo_u16_e32 v33, 3, v80
	v_lshlrev_b32_sdwa v59, v63, v33 dst_sel:DWORD dst_unused:UNUSED_PAD src0_sel:DWORD src1_sel:BYTE_0
	global_load_dwordx4 v[35:38], v59, s[12:13]
	global_load_dwordx4 v[39:42], v59, s[12:13] offset:16
	v_lshl_add_u32 v34, v5, 4, v31
	ds_read_b128 v[43:46], v34
	v_lshl_add_u32 v33, v3, 4, v31
	v_lshlrev_b64 v[5:6], 4, v[5:6]
	v_lshlrev_b64 v[3:4], 4, v[3:4]
	s_waitcnt vmcnt(4) lgkmcnt(0)
	v_mul_f64 v[47:48], v[45:46], v[21:22]
	v_mul_f64 v[21:22], v[43:44], v[21:22]
	v_fma_f64 v[43:44], v[43:44], v[19:20], v[47:48]
	v_fma_f64 v[45:46], v[45:46], v[19:20], -v[21:22]
	ds_read_b128 v[19:22], v7 offset:1536
	s_waitcnt vmcnt(3) lgkmcnt(0)
	v_mul_f64 v[47:48], v[21:22], v[25:26]
	v_mul_f64 v[25:26], v[19:20], v[25:26]
	v_fma_f64 v[47:48], v[19:20], v[23:24], v[47:48]
	v_fma_f64 v[49:50], v[21:22], v[23:24], -v[25:26]
	ds_read_b128 v[19:22], v7 offset:2304
	s_waitcnt vmcnt(2) lgkmcnt(0)
	v_mul_f64 v[23:24], v[21:22], v[29:30]
	v_mul_f64 v[25:26], v[19:20], v[29:30]
	v_fma_f64 v[29:30], v[19:20], v[27:28], v[23:24]
	v_fma_f64 v[27:28], v[21:22], v[27:28], -v[25:26]
	ds_read_b128 v[19:22], v33
	s_waitcnt vmcnt(1) lgkmcnt(0)
	v_mul_f64 v[23:24], v[21:22], v[37:38]
	v_mul_f64 v[25:26], v[19:20], v[37:38]
	v_add_f64 v[29:30], v[43:44], -v[29:30]
	v_add_f64 v[75:76], v[45:46], -v[27:28]
	v_mul_lo_u16_e32 v27, 24, v77
	v_or_b32_e32 v28, v27, v78
	v_fma_f64 v[51:52], v[19:20], v[35:36], v[23:24]
	v_fma_f64 v[53:54], v[21:22], v[35:36], -v[25:26]
	ds_read_b128 v[19:22], v7 offset:1792
	s_waitcnt vmcnt(0) lgkmcnt(0)
	v_mul_f64 v[23:24], v[21:22], v[41:42]
	v_mul_f64 v[25:26], v[19:20], v[41:42]
	v_fma_f64 v[55:56], v[19:20], v[39:40], v[23:24]
	v_fma_f64 v[57:58], v[21:22], v[39:40], -v[25:26]
	global_load_dwordx4 v[19:22], v59, s[12:13] offset:32
	ds_read_b128 v[23:26], v7 offset:2560
	s_waitcnt vmcnt(0) lgkmcnt(0)
	v_mul_f64 v[35:36], v[25:26], v[21:22]
	v_mul_f64 v[21:22], v[23:24], v[21:22]
	v_fma_f64 v[59:60], v[23:24], v[19:20], v[35:36]
	v_fma_f64 v[61:62], v[25:26], v[19:20], -v[21:22]
	v_mul_lo_u16_sdwa v19, v16, s0 dst_sel:DWORD dst_unused:UNUSED_PAD src0_sel:BYTE_0 src1_sel:DWORD
	v_lshrrev_b16_e32 v81, 10, v19
	v_mul_lo_u16_e32 v19, 6, v81
	v_sub_u16_e32 v82, v16, v19
	v_mul_lo_u16_e32 v19, 3, v82
	v_lshlrev_b32_sdwa v38, v63, v19 dst_sel:DWORD dst_unused:UNUSED_PAD src0_sel:DWORD src1_sel:BYTE_0
	global_load_dwordx4 v[19:22], v38, s[12:13]
	v_lshl_add_u32 v35, v1, 4, v31
	ds_read_b128 v[23:26], v35
	s_movk_i32 s0, 0xffb0
	v_mad_i32_i24 v27, v14, s0, v18
	v_and_b32_e32 v18, 0xff, v28
	v_lshl_add_u32 v18, v18, 4, v31
	v_cmp_gt_u32_e64 s[0:1], 24, v14
	v_lshlrev_b64 v[1:2], 4, v[1:2]
	s_waitcnt vmcnt(0) lgkmcnt(0)
	v_mul_f64 v[36:37], v[25:26], v[21:22]
	v_mul_f64 v[21:22], v[23:24], v[21:22]
	v_fma_f64 v[63:64], v[23:24], v[19:20], v[36:37]
	v_fma_f64 v[65:66], v[25:26], v[19:20], -v[21:22]
	global_load_dwordx4 v[19:22], v38, s[12:13] offset:16
	ds_read_b128 v[23:26], v7 offset:2048
	s_waitcnt vmcnt(0) lgkmcnt(0)
	v_mul_f64 v[36:37], v[25:26], v[21:22]
	v_mul_f64 v[21:22], v[23:24], v[21:22]
	v_fma_f64 v[67:68], v[23:24], v[19:20], v[36:37]
	v_fma_f64 v[69:70], v[25:26], v[19:20], -v[21:22]
	global_load_dwordx4 v[19:22], v38, s[12:13] offset:32
	ds_read_b128 v[23:26], v7 offset:2816
	s_waitcnt vmcnt(0) lgkmcnt(0)
	v_mul_f64 v[36:37], v[25:26], v[21:22]
	v_mul_f64 v[21:22], v[23:24], v[21:22]
	v_fma_f64 v[71:72], v[23:24], v[19:20], v[36:37]
	v_fma_f64 v[73:74], v[25:26], v[19:20], -v[21:22]
	ds_read_b128 v[19:22], v32
	v_lshl_add_u32 v36, v16, 4, v31
	s_waitcnt lgkmcnt(0)
	v_add_f64 v[47:48], v[19:20], -v[47:48]
	v_add_f64 v[49:50], v[21:22], -v[49:50]
	v_fma_f64 v[23:24], v[19:20], 2.0, -v[47:48]
	v_fma_f64 v[25:26], v[21:22], 2.0, -v[49:50]
	;; [unrolled: 1-line block ×4, first 2 shown]
	ds_read_b128 v[37:40], v27
	ds_read_b128 v[41:44], v36
	s_waitcnt lgkmcnt(0)
	s_barrier
	v_add_f64 v[19:20], v[23:24], -v[19:20]
	v_add_f64 v[21:22], v[25:26], -v[21:22]
	v_fma_f64 v[23:24], v[23:24], 2.0, -v[19:20]
	v_fma_f64 v[25:26], v[25:26], 2.0, -v[21:22]
	ds_write_b128 v18, v[23:26]
	v_add_f64 v[23:24], v[47:48], v[75:76]
	v_add_f64 v[25:26], v[49:50], -v[29:30]
	v_add_f64 v[28:29], v[37:38], -v[55:56]
	v_fma_f64 v[45:46], v[47:48], 2.0, -v[23:24]
	v_fma_f64 v[47:48], v[49:50], 2.0, -v[25:26]
	ds_write_b128 v18, v[45:48] offset:96
	ds_write_b128 v18, v[19:22] offset:192
	ds_write_b128 v18, v[23:26] offset:288
	v_add_f64 v[45:46], v[39:40], -v[57:58]
	v_fma_f64 v[22:23], v[37:38], 2.0, -v[28:29]
	v_add_f64 v[37:38], v[51:52], -v[59:60]
	v_mul_lo_u16_e32 v26, 24, v79
	v_or_b32_e32 v26, v26, v80
	v_and_b32_e32 v26, 0xff, v26
	v_lshl_add_u32 v26, v26, 4, v31
	v_add_f64 v[47:48], v[63:64], -v[71:72]
	v_fma_f64 v[24:25], v[39:40], 2.0, -v[45:46]
	v_add_f64 v[39:40], v[53:54], -v[61:62]
	v_fma_f64 v[18:19], v[51:52], 2.0, -v[37:38]
	v_add_f64 v[51:52], v[43:44], -v[69:70]
	v_fma_f64 v[20:21], v[53:54], 2.0, -v[39:40]
	v_add_f64 v[18:19], v[22:23], -v[18:19]
	v_fma_f64 v[53:54], v[43:44], 2.0, -v[51:52]
	v_add_f64 v[20:21], v[24:25], -v[20:21]
	v_fma_f64 v[22:23], v[22:23], 2.0, -v[18:19]
	v_fma_f64 v[24:25], v[24:25], 2.0, -v[20:21]
	ds_write_b128 v26, v[22:25]
	v_add_f64 v[22:23], v[28:29], v[39:40]
	v_add_f64 v[24:25], v[45:46], -v[37:38]
	v_fma_f64 v[37:38], v[28:29], 2.0, -v[22:23]
	v_fma_f64 v[39:40], v[45:46], 2.0, -v[24:25]
	v_add_f64 v[28:29], v[41:42], -v[67:68]
	v_add_f64 v[45:46], v[65:66], -v[73:74]
	ds_write_b128 v26, v[37:40] offset:96
	v_fma_f64 v[49:50], v[41:42], 2.0, -v[28:29]
	v_fma_f64 v[41:42], v[63:64], 2.0, -v[47:48]
	;; [unrolled: 1-line block ×3, first 2 shown]
	v_add_f64 v[45:46], v[28:29], v[45:46]
	v_add_f64 v[47:48], v[51:52], -v[47:48]
	ds_write_b128 v26, v[18:21] offset:192
	ds_write_b128 v26, v[22:25] offset:288
	v_mul_lo_u16_e32 v18, 24, v81
	v_or_b32_e32 v18, v18, v82
	v_and_b32_e32 v18, 0xff, v18
	v_add_f64 v[41:42], v[49:50], -v[41:42]
	v_add_f64 v[43:44], v[53:54], -v[43:44]
	v_lshl_add_u32 v18, v18, 4, v31
	v_fma_f64 v[51:52], v[51:52], 2.0, -v[47:48]
	v_fma_f64 v[37:38], v[49:50], 2.0, -v[41:42]
	;; [unrolled: 1-line block ×4, first 2 shown]
	ds_write_b128 v18, v[37:40]
	ds_write_b128 v18, v[49:52] offset:96
	ds_write_b128 v18, v[41:44] offset:192
	;; [unrolled: 1-line block ×3, first 2 shown]
	v_mul_u32_u24_e32 v18, 3, v10
	v_lshlrev_b32_e32 v26, 4, v18
	s_waitcnt lgkmcnt(0)
	s_barrier
	global_load_dwordx4 v[18:21], v26, s[12:13] offset:288
	global_load_dwordx4 v[22:25], v26, s[12:13] offset:304
	;; [unrolled: 1-line block ×3, first 2 shown]
	v_add_u32_e32 v28, -8, v10
	v_cndmask_b32_e64 v79, v28, v14, s[0:1]
	v_mul_i32_i24_e32 v28, 3, v79
	v_mov_b32_e32 v29, 0
	v_lshlrev_b64 v[29:30], 4, v[28:29]
	v_mov_b32_e32 v28, s13
	v_add_co_u32_e64 v29, s[0:1], s12, v29
	v_addc_co_u32_e64 v30, s[0:1], v28, v30, s[0:1]
	global_load_dwordx4 v[41:44], v[29:30], off offset:288
	ds_read_b128 v[45:48], v34
	v_cmp_lt_u32_e64 s[0:1], 23, v14
	s_waitcnt vmcnt(3) lgkmcnt(0)
	v_mul_f64 v[49:50], v[47:48], v[20:21]
	v_mul_f64 v[20:21], v[45:46], v[20:21]
	v_fma_f64 v[45:46], v[45:46], v[18:19], v[49:50]
	v_fma_f64 v[47:48], v[47:48], v[18:19], -v[20:21]
	ds_read_b128 v[18:21], v7 offset:1536
	s_waitcnt vmcnt(2) lgkmcnt(0)
	v_mul_f64 v[49:50], v[20:21], v[24:25]
	v_mul_f64 v[24:25], v[18:19], v[24:25]
	v_fma_f64 v[49:50], v[18:19], v[22:23], v[49:50]
	v_fma_f64 v[51:52], v[20:21], v[22:23], -v[24:25]
	ds_read_b128 v[18:21], v7 offset:2304
	s_waitcnt vmcnt(1) lgkmcnt(0)
	v_mul_f64 v[22:23], v[20:21], v[39:40]
	v_mul_f64 v[24:25], v[18:19], v[39:40]
	v_fma_f64 v[39:40], v[18:19], v[37:38], v[22:23]
	v_fma_f64 v[37:38], v[20:21], v[37:38], -v[24:25]
	ds_read_b128 v[18:21], v33
	s_waitcnt vmcnt(0) lgkmcnt(0)
	v_mul_f64 v[22:23], v[20:21], v[43:44]
	v_mul_f64 v[24:25], v[18:19], v[43:44]
	v_add_f64 v[75:76], v[45:46], -v[39:40]
	v_add_f64 v[77:78], v[47:48], -v[37:38]
	v_fma_f64 v[53:54], v[18:19], v[41:42], v[22:23]
	v_fma_f64 v[55:56], v[20:21], v[41:42], -v[24:25]
	global_load_dwordx4 v[18:21], v[29:30], off offset:304
	ds_read_b128 v[22:25], v7 offset:1792
	s_waitcnt vmcnt(0) lgkmcnt(0)
	v_mul_f64 v[41:42], v[24:25], v[20:21]
	v_mul_f64 v[20:21], v[22:23], v[20:21]
	v_fma_f64 v[57:58], v[22:23], v[18:19], v[41:42]
	v_fma_f64 v[59:60], v[24:25], v[18:19], -v[20:21]
	global_load_dwordx4 v[18:21], v[29:30], off offset:320
	ds_read_b128 v[22:25], v7 offset:2560
	s_waitcnt vmcnt(0) lgkmcnt(0)
	v_mul_f64 v[29:30], v[24:25], v[20:21]
	v_mul_f64 v[20:21], v[22:23], v[20:21]
	v_fma_f64 v[29:30], v[22:23], v[18:19], v[29:30]
	v_fma_f64 v[61:62], v[24:25], v[18:19], -v[20:21]
	global_load_dwordx4 v[18:21], v26, s[12:13] offset:672
	ds_read_b128 v[22:25], v35
	v_add_f64 v[29:30], v[53:54], -v[29:30]
	s_waitcnt vmcnt(0) lgkmcnt(0)
	v_mul_f64 v[41:42], v[24:25], v[20:21]
	v_mul_f64 v[20:21], v[22:23], v[20:21]
	v_fma_f64 v[63:64], v[22:23], v[18:19], v[41:42]
	v_fma_f64 v[65:66], v[24:25], v[18:19], -v[20:21]
	global_load_dwordx4 v[18:21], v26, s[12:13] offset:688
	ds_read_b128 v[22:25], v7 offset:2048
	s_waitcnt vmcnt(0) lgkmcnt(0)
	v_mul_f64 v[41:42], v[24:25], v[20:21]
	v_mul_f64 v[20:21], v[22:23], v[20:21]
	v_fma_f64 v[67:68], v[22:23], v[18:19], v[41:42]
	v_fma_f64 v[69:70], v[24:25], v[18:19], -v[20:21]
	global_load_dwordx4 v[18:21], v26, s[12:13] offset:704
	ds_read_b128 v[22:25], v7 offset:2816
	v_mov_b32_e32 v26, 0x60
	v_cndmask_b32_e64 v26, 0, v26, s[0:1]
	v_or_b32_e32 v26, v26, v79
	v_lshl_add_u32 v26, v26, 4, v31
	s_waitcnt vmcnt(0) lgkmcnt(0)
	v_mul_f64 v[41:42], v[24:25], v[20:21]
	v_mul_f64 v[20:21], v[22:23], v[20:21]
	v_fma_f64 v[71:72], v[22:23], v[18:19], v[41:42]
	v_fma_f64 v[73:74], v[24:25], v[18:19], -v[20:21]
	ds_read_b128 v[18:21], v32
	ds_read_b128 v[37:40], v27
	;; [unrolled: 1-line block ×3, first 2 shown]
	s_waitcnt lgkmcnt(0)
	s_barrier
	v_add_f64 v[49:50], v[18:19], -v[49:50]
	v_add_f64 v[51:52], v[20:21], -v[51:52]
	v_fma_f64 v[22:23], v[18:19], 2.0, -v[49:50]
	v_fma_f64 v[24:25], v[20:21], 2.0, -v[51:52]
	;; [unrolled: 1-line block ×4, first 2 shown]
	v_add_f64 v[18:19], v[22:23], -v[18:19]
	v_add_f64 v[20:21], v[24:25], -v[20:21]
	v_fma_f64 v[22:23], v[22:23], 2.0, -v[18:19]
	v_fma_f64 v[24:25], v[24:25], 2.0, -v[20:21]
	ds_write_b128 v7, v[22:25]
	v_add_f64 v[22:23], v[49:50], v[77:78]
	v_add_f64 v[24:25], v[51:52], -v[75:76]
	v_fma_f64 v[45:46], v[49:50], 2.0, -v[22:23]
	v_fma_f64 v[47:48], v[51:52], 2.0, -v[24:25]
	ds_write_b128 v7, v[45:48] offset:384
	ds_write_b128 v7, v[18:21] offset:768
	;; [unrolled: 1-line block ×3, first 2 shown]
	v_add_f64 v[45:46], v[37:38], -v[57:58]
	v_add_f64 v[47:48], v[39:40], -v[59:60]
	v_fma_f64 v[18:19], v[53:54], 2.0, -v[29:30]
	v_add_f64 v[53:54], v[41:42], -v[67:68]
	v_add_f64 v[49:50], v[63:64], -v[71:72]
	;; [unrolled: 1-line block ×3, first 2 shown]
	v_fma_f64 v[22:23], v[37:38], 2.0, -v[45:46]
	v_add_f64 v[37:38], v[55:56], -v[61:62]
	v_fma_f64 v[24:25], v[39:40], 2.0, -v[47:48]
	v_fma_f64 v[57:58], v[41:42], 2.0, -v[53:54]
	;; [unrolled: 1-line block ×4, first 2 shown]
	v_add_f64 v[18:19], v[22:23], -v[18:19]
	v_fma_f64 v[20:21], v[55:56], 2.0, -v[37:38]
	v_add_f64 v[55:56], v[43:44], -v[69:70]
	v_fma_f64 v[22:23], v[22:23], 2.0, -v[18:19]
	;; [unrolled: 2-line block ×4, first 2 shown]
	v_fma_f64 v[55:56], v[55:56], 2.0, -v[43:44]
	ds_write_b128 v26, v[22:25]
	v_add_f64 v[22:23], v[45:46], v[37:38]
	v_add_f64 v[24:25], v[47:48], -v[29:30]
	v_add_f64 v[37:38], v[57:58], -v[39:40]
	;; [unrolled: 1-line block ×3, first 2 shown]
	v_add_f64 v[41:42], v[53:54], v[51:52]
	v_fma_f64 v[45:46], v[45:46], 2.0, -v[22:23]
	v_fma_f64 v[47:48], v[47:48], 2.0, -v[24:25]
	;; [unrolled: 1-line block ×5, first 2 shown]
	ds_write_b128 v26, v[45:48] offset:384
	ds_write_b128 v26, v[18:21] offset:768
	ds_write_b128 v26, v[22:25] offset:1152
	ds_write_b128 v7, v[49:52] offset:1664
	ds_write_b128 v7, v[53:56] offset:2048
	ds_write_b128 v7, v[37:40] offset:2432
	ds_write_b128 v7, v[41:44] offset:2816
	v_lshlrev_b64 v[18:19], 4, v[10:11]
	s_waitcnt lgkmcnt(0)
	v_add_co_u32_e64 v25, s[0:1], s12, v18
	v_addc_co_u32_e64 v26, s[0:1], v28, v19, s[0:1]
	s_barrier
	global_load_dwordx4 v[37:40], v[25:26], off offset:1440
	v_lshlrev_b64 v[18:19], 4, v[14:15]
	v_lshlrev_b64 v[15:16], 4, v[16:17]
	v_add_co_u32_e64 v21, s[0:1], s12, v18
	v_addc_co_u32_e64 v22, s[0:1], v28, v19, s[0:1]
	global_load_dwordx4 v[41:44], v[21:22], off offset:1440
	v_add_co_u32_e64 v23, s[0:1], s12, v15
	v_addc_co_u32_e64 v24, s[0:1], v28, v16, s[0:1]
	global_load_dwordx4 v[15:18], v[23:24], off offset:1440
	;; [unrolled: 3-line block ×3, first 2 shown]
	ds_read_b128 v[49:52], v7 offset:1536
	v_sub_u32_e32 v11, v31, v0
	s_waitcnt vmcnt(3) lgkmcnt(0)
	v_mul_f64 v[5:6], v[51:52], v[39:40]
	v_mul_f64 v[29:30], v[49:50], v[39:40]
	v_fma_f64 v[49:50], v[49:50], v[37:38], v[5:6]
	v_fma_f64 v[29:30], v[51:52], v[37:38], -v[29:30]
	ds_read_b128 v[37:40], v7 offset:1792
	s_waitcnt vmcnt(2) lgkmcnt(0)
	v_mul_f64 v[5:6], v[39:40], v[43:44]
	v_mul_f64 v[43:44], v[37:38], v[43:44]
	v_fma_f64 v[61:62], v[37:38], v[41:42], v[5:6]
	v_fma_f64 v[63:64], v[39:40], v[41:42], -v[43:44]
	ds_read_b128 v[37:40], v7 offset:2048
	s_waitcnt vmcnt(1) lgkmcnt(0)
	v_mul_f64 v[5:6], v[39:40], v[17:18]
	v_mul_f64 v[17:18], v[37:38], v[17:18]
	v_fma_f64 v[65:66], v[37:38], v[15:16], v[5:6]
	v_fma_f64 v[67:68], v[39:40], v[15:16], -v[17:18]
	ds_read_b128 v[15:18], v7 offset:2304
	s_waitcnt vmcnt(0) lgkmcnt(0)
	v_mul_f64 v[37:38], v[15:16], v[47:48]
	v_mul_f64 v[5:6], v[17:18], v[47:48]
	v_fma_f64 v[71:72], v[17:18], v[45:46], -v[37:38]
	v_add_co_u32_e64 v17, s[0:1], s12, v3
	v_addc_co_u32_e64 v18, s[0:1], v28, v4, s[0:1]
	v_fma_f64 v[69:70], v[15:16], v[45:46], v[5:6]
	global_load_dwordx4 v[3:6], v[17:18], off offset:1440
	ds_read_b128 v[37:40], v7 offset:2560
	v_add_co_u32_e64 v15, s[0:1], s12, v1
	v_addc_co_u32_e64 v16, s[0:1], v28, v2, s[0:1]
	v_cmp_ne_u32_e64 s[0:1], 0, v10
	s_waitcnt vmcnt(0) lgkmcnt(0)
	v_mul_f64 v[1:2], v[39:40], v[5:6]
	v_mul_f64 v[5:6], v[37:38], v[5:6]
	v_fma_f64 v[73:74], v[37:38], v[3:4], v[1:2]
	v_fma_f64 v[5:6], v[39:40], v[3:4], -v[5:6]
	global_load_dwordx4 v[1:4], v[15:16], off offset:1440
	ds_read_b128 v[37:40], v7 offset:2816
	s_waitcnt vmcnt(0) lgkmcnt(0)
	v_mul_f64 v[41:42], v[39:40], v[3:4]
	v_mul_f64 v[3:4], v[37:38], v[3:4]
	v_fma_f64 v[75:76], v[37:38], v[1:2], v[41:42]
	v_fma_f64 v[77:78], v[39:40], v[1:2], -v[3:4]
	ds_read_b128 v[1:4], v32
	s_waitcnt lgkmcnt(0)
	v_add_f64 v[37:38], v[1:2], -v[49:50]
	v_add_f64 v[39:40], v[3:4], -v[29:30]
	ds_read_b128 v[41:44], v27
	ds_read_b128 v[45:48], v34
	;; [unrolled: 1-line block ×5, first 2 shown]
	s_waitcnt lgkmcnt(0)
	s_barrier
	v_fma_f64 v[1:2], v[1:2], 2.0, -v[37:38]
	v_fma_f64 v[3:4], v[3:4], 2.0, -v[39:40]
	ds_write_b128 v7, v[1:4]
	ds_write_b128 v7, v[37:40] offset:1536
	v_add_f64 v[1:2], v[41:42], -v[61:62]
	v_add_f64 v[3:4], v[43:44], -v[63:64]
	v_fma_f64 v[37:38], v[41:42], 2.0, -v[1:2]
	v_fma_f64 v[39:40], v[43:44], 2.0, -v[3:4]
	ds_write_b128 v27, v[37:40]
	ds_write_b128 v27, v[1:4] offset:1536
	v_add_f64 v[37:38], v[45:46], -v[69:70]
	v_add_f64 v[39:40], v[47:48], -v[71:72]
	v_add_f64 v[1:2], v[49:50], -v[65:66]
	v_add_f64 v[3:4], v[51:52], -v[67:68]
	v_fma_f64 v[41:42], v[45:46], 2.0, -v[37:38]
	v_fma_f64 v[43:44], v[47:48], 2.0, -v[39:40]
	v_add_f64 v[45:46], v[53:54], -v[73:74]
	v_add_f64 v[47:48], v[55:56], -v[5:6]
	v_fma_f64 v[27:28], v[49:50], 2.0, -v[1:2]
	v_fma_f64 v[29:30], v[51:52], 2.0, -v[3:4]
	;; [unrolled: 1-line block ×4, first 2 shown]
	v_add_f64 v[53:54], v[57:58], -v[75:76]
	v_add_f64 v[55:56], v[59:60], -v[77:78]
	v_fma_f64 v[57:58], v[57:58], 2.0, -v[53:54]
	v_fma_f64 v[59:60], v[59:60], 2.0, -v[55:56]
	ds_write_b128 v36, v[27:30]
	ds_write_b128 v36, v[1:4] offset:1536
	ds_write_b128 v34, v[41:44]
	ds_write_b128 v34, v[37:40] offset:1536
	;; [unrolled: 2-line block ×4, first 2 shown]
	s_waitcnt lgkmcnt(0)
	s_barrier
	ds_read_b128 v[4:7], v32
                                        ; implicit-def: $vgpr27_vgpr28
                                        ; implicit-def: $vgpr29_vgpr30
                                        ; implicit-def: $vgpr0_vgpr1
	s_and_saveexec_b64 s[4:5], s[0:1]
	s_xor_b64 s[0:1], exec, s[4:5]
	s_cbranch_execz .LBB0_15
; %bb.14:
	global_load_dwordx4 v[25:28], v[25:26], off offset:2976
	ds_read_b128 v[0:3], v11 offset:3072
	s_waitcnt lgkmcnt(0)
	v_add_f64 v[29:30], v[4:5], -v[0:1]
	v_add_f64 v[37:38], v[6:7], v[2:3]
	v_add_f64 v[2:3], v[6:7], -v[2:3]
	v_add_f64 v[0:1], v[4:5], v[0:1]
	v_mul_f64 v[6:7], v[29:30], 0.5
	v_mul_f64 v[4:5], v[37:38], 0.5
	;; [unrolled: 1-line block ×3, first 2 shown]
	s_waitcnt vmcnt(0)
	v_mul_f64 v[29:30], v[6:7], v[27:28]
	v_fma_f64 v[37:38], v[4:5], v[27:28], v[2:3]
	v_fma_f64 v[2:3], v[4:5], v[27:28], -v[2:3]
	v_fma_f64 v[39:40], v[0:1], 0.5, v[29:30]
	v_fma_f64 v[0:1], v[0:1], 0.5, -v[29:30]
	v_fma_f64 v[29:30], -v[25:26], v[6:7], v[37:38]
	v_fma_f64 v[2:3], -v[25:26], v[6:7], v[2:3]
	v_fma_f64 v[27:28], v[4:5], v[25:26], v[39:40]
	v_fma_f64 v[0:1], -v[4:5], v[25:26], v[0:1]
                                        ; implicit-def: $vgpr4_vgpr5
.LBB0_15:
	s_andn2_saveexec_b64 s[0:1], s[0:1]
	s_cbranch_execz .LBB0_17
; %bb.16:
	s_waitcnt lgkmcnt(0)
	v_add_f64 v[27:28], v[4:5], v[6:7]
	ds_read_b64 v[2:3], v31 offset:1544
	v_add_f64 v[0:1], v[4:5], -v[6:7]
	v_mov_b32_e32 v29, 0
	v_mov_b32_e32 v30, 0
	s_waitcnt lgkmcnt(0)
	v_xor_b32_e32 v3, 0x80000000, v3
	ds_write_b64 v31, v[2:3] offset:1544
	v_mov_b32_e32 v2, v29
	v_mov_b32_e32 v3, v30
.LBB0_17:
	s_or_b64 exec, exec, s[0:1]
	s_waitcnt lgkmcnt(0)
	global_load_dwordx4 v[4:7], v[21:22], off offset:2976
	global_load_dwordx4 v[37:40], v[23:24], off offset:2976
	ds_write2_b64 v32, v[27:28], v[29:30] offset1:1
	ds_write_b128 v11, v[0:3] offset:3072
	v_lshl_add_u32 v14, v14, 4, v31
	ds_read_b128 v[0:3], v14
	ds_read_b128 v[21:24], v11 offset:2816
	s_waitcnt lgkmcnt(0)
	v_add_f64 v[25:26], v[0:1], -v[21:22]
	v_add_f64 v[27:28], v[2:3], v[23:24]
	v_add_f64 v[2:3], v[2:3], -v[23:24]
	v_add_f64 v[0:1], v[0:1], v[21:22]
	v_mul_f64 v[23:24], v[25:26], 0.5
	v_mul_f64 v[25:26], v[27:28], 0.5
	v_mul_f64 v[2:3], v[2:3], 0.5
	s_waitcnt vmcnt(1)
	v_mul_f64 v[21:22], v[23:24], v[6:7]
	v_fma_f64 v[27:28], v[25:26], v[6:7], v[2:3]
	v_fma_f64 v[6:7], v[25:26], v[6:7], -v[2:3]
	v_fma_f64 v[29:30], v[0:1], 0.5, v[21:22]
	v_fma_f64 v[21:22], v[0:1], 0.5, -v[21:22]
	global_load_dwordx4 v[0:3], v[19:20], off offset:2976
	v_fma_f64 v[19:20], -v[4:5], v[23:24], v[27:28]
	v_fma_f64 v[6:7], -v[4:5], v[23:24], v[6:7]
	v_fma_f64 v[23:24], v[25:26], v[4:5], v[29:30]
	v_fma_f64 v[4:5], -v[25:26], v[4:5], v[21:22]
	ds_write2_b64 v14, v[23:24], v[19:20] offset1:1
	ds_write_b128 v11, v[4:7] offset:2816
	ds_read_b128 v[4:7], v36
	ds_read_b128 v[19:22], v11 offset:2560
	s_waitcnt lgkmcnt(0)
	v_add_f64 v[23:24], v[4:5], -v[19:20]
	v_add_f64 v[25:26], v[6:7], v[21:22]
	v_add_f64 v[6:7], v[6:7], -v[21:22]
	v_add_f64 v[4:5], v[4:5], v[19:20]
	v_mul_f64 v[21:22], v[23:24], 0.5
	v_mul_f64 v[23:24], v[25:26], 0.5
	v_mul_f64 v[6:7], v[6:7], 0.5
	s_waitcnt vmcnt(1)
	v_mul_f64 v[19:20], v[21:22], v[39:40]
	v_fma_f64 v[25:26], v[23:24], v[39:40], v[6:7]
	v_fma_f64 v[27:28], v[23:24], v[39:40], -v[6:7]
	v_fma_f64 v[29:30], v[4:5], 0.5, v[19:20]
	v_fma_f64 v[39:40], v[4:5], 0.5, -v[19:20]
	global_load_dwordx4 v[4:7], v[17:18], off offset:2976
	v_fma_f64 v[25:26], -v[37:38], v[21:22], v[25:26]
	v_fma_f64 v[19:20], -v[37:38], v[21:22], v[27:28]
	v_fma_f64 v[21:22], v[23:24], v[37:38], v[29:30]
	v_fma_f64 v[17:18], -v[23:24], v[37:38], v[39:40]
	ds_write2_b64 v36, v[21:22], v[25:26] offset1:1
	ds_write_b128 v11, v[17:20] offset:2560
	;; [unrolled: 23-line block ×3, first 2 shown]
	ds_read_b128 v[0:3], v33
	ds_read_b128 v[18:21], v11 offset:2048
	s_waitcnt lgkmcnt(0)
	v_add_f64 v[22:23], v[0:1], -v[18:19]
	v_add_f64 v[24:25], v[2:3], v[20:21]
	v_add_f64 v[2:3], v[2:3], -v[20:21]
	v_add_f64 v[0:1], v[0:1], v[18:19]
	v_mul_f64 v[20:21], v[22:23], 0.5
	v_mul_f64 v[22:23], v[24:25], 0.5
	;; [unrolled: 1-line block ×3, first 2 shown]
	s_waitcnt vmcnt(1)
	v_mul_f64 v[18:19], v[20:21], v[6:7]
	v_fma_f64 v[24:25], v[22:23], v[6:7], v[2:3]
	v_fma_f64 v[2:3], v[22:23], v[6:7], -v[2:3]
	v_fma_f64 v[6:7], v[0:1], 0.5, v[18:19]
	v_fma_f64 v[0:1], v[0:1], 0.5, -v[18:19]
	v_fma_f64 v[18:19], -v[4:5], v[20:21], v[24:25]
	v_fma_f64 v[2:3], -v[4:5], v[20:21], v[2:3]
	v_fma_f64 v[6:7], v[22:23], v[4:5], v[6:7]
	v_fma_f64 v[0:1], -v[22:23], v[4:5], v[0:1]
	ds_write2_b64 v33, v[6:7], v[18:19] offset1:1
	ds_write_b128 v11, v[0:3] offset:2048
	ds_read_b128 v[0:3], v35
	ds_read_b128 v[4:7], v11 offset:1792
	s_waitcnt lgkmcnt(0)
	v_add_f64 v[18:19], v[0:1], -v[4:5]
	v_add_f64 v[20:21], v[2:3], v[6:7]
	v_add_f64 v[2:3], v[2:3], -v[6:7]
	v_add_f64 v[0:1], v[0:1], v[4:5]
	v_mul_f64 v[6:7], v[18:19], 0.5
	v_mul_f64 v[18:19], v[20:21], 0.5
	;; [unrolled: 1-line block ×3, first 2 shown]
	s_waitcnt vmcnt(0)
	v_mul_f64 v[4:5], v[6:7], v[16:17]
	v_fma_f64 v[20:21], v[18:19], v[16:17], v[2:3]
	v_fma_f64 v[2:3], v[18:19], v[16:17], -v[2:3]
	v_fma_f64 v[16:17], v[0:1], 0.5, v[4:5]
	v_fma_f64 v[0:1], v[0:1], 0.5, -v[4:5]
	v_fma_f64 v[4:5], -v[14:15], v[6:7], v[20:21]
	v_fma_f64 v[2:3], -v[14:15], v[6:7], v[2:3]
	v_fma_f64 v[6:7], v[18:19], v[14:15], v[16:17]
	v_fma_f64 v[0:1], -v[18:19], v[14:15], v[0:1]
	ds_write2_b64 v35, v[6:7], v[4:5] offset1:1
	ds_write_b128 v11, v[0:3] offset:1792
	s_waitcnt lgkmcnt(0)
	s_barrier
	s_and_saveexec_b64 s[0:1], vcc
	s_cbranch_execz .LBB0_20
; %bb.18:
	v_mul_lo_u32 v2, s3, v12
	v_mul_lo_u32 v3, s2, v13
	v_mad_u64_u32 v[0:1], s[0:1], s2, v12, 0
	v_mov_b32_e32 v7, s11
	v_mov_b32_e32 v11, 0
	v_add3_u32 v1, v1, v3, v2
	v_lshlrev_b64 v[0:1], 4, v[0:1]
	v_lshl_add_u32 v2, v10, 4, v31
	v_add_co_u32_e32 v12, vcc, s10, v0
	v_addc_co_u32_e32 v7, vcc, v7, v1, vcc
	v_lshlrev_b64 v[0:1], 4, v[8:9]
	ds_read_b128 v[3:6], v2
	v_add_co_u32_e32 v0, vcc, v12, v0
	ds_read_b128 v[12:15], v2 offset:256
	v_addc_co_u32_e32 v1, vcc, v7, v1, vcc
	v_lshlrev_b64 v[7:8], 4, v[10:11]
	v_add_co_u32_e32 v7, vcc, v0, v7
	v_addc_co_u32_e32 v8, vcc, v1, v8, vcc
	s_waitcnt lgkmcnt(1)
	global_store_dwordx4 v[7:8], v[3:6], off
	v_add_u32_e32 v7, 32, v10
	v_add_u32_e32 v3, 16, v10
	v_mov_b32_e32 v4, v11
	v_lshlrev_b64 v[3:4], 4, v[3:4]
	v_mov_b32_e32 v8, v11
	v_add_co_u32_e32 v3, vcc, v0, v3
	v_addc_co_u32_e32 v4, vcc, v1, v4, vcc
	s_waitcnt lgkmcnt(0)
	global_store_dwordx4 v[3:4], v[12:15], off
	ds_read_b128 v[3:6], v2 offset:512
	ds_read_b128 v[12:15], v2 offset:768
	v_lshlrev_b64 v[7:8], 4, v[7:8]
	v_add_co_u32_e32 v7, vcc, v0, v7
	v_addc_co_u32_e32 v8, vcc, v1, v8, vcc
	s_waitcnt lgkmcnt(1)
	global_store_dwordx4 v[7:8], v[3:6], off
	v_add_u32_e32 v7, 64, v10
	v_add_u32_e32 v3, 48, v10
	v_mov_b32_e32 v4, v11
	v_lshlrev_b64 v[3:4], 4, v[3:4]
	v_mov_b32_e32 v8, v11
	v_add_co_u32_e32 v3, vcc, v0, v3
	v_addc_co_u32_e32 v4, vcc, v1, v4, vcc
	s_waitcnt lgkmcnt(0)
	global_store_dwordx4 v[3:4], v[12:15], off
	ds_read_b128 v[3:6], v2 offset:1024
	ds_read_b128 v[12:15], v2 offset:1280
	;; [unrolled: 16-line block ×5, first 2 shown]
	v_lshlrev_b64 v[7:8], 4, v[7:8]
	v_add_co_u32_e32 v7, vcc, v0, v7
	v_addc_co_u32_e32 v8, vcc, v1, v8, vcc
	s_waitcnt lgkmcnt(1)
	global_store_dwordx4 v[7:8], v[3:6], off
	s_nop 0
	v_add_u32_e32 v3, 0xb0, v10
	v_mov_b32_e32 v4, v11
	v_lshlrev_b64 v[3:4], 4, v[3:4]
	v_add_co_u32_e32 v3, vcc, v0, v3
	v_addc_co_u32_e32 v4, vcc, v1, v4, vcc
	v_cmp_eq_u32_e32 vcc, 15, v10
	s_waitcnt lgkmcnt(0)
	global_store_dwordx4 v[3:4], v[12:15], off
	s_and_b64 exec, exec, vcc
	s_cbranch_execz .LBB0_20
; %bb.19:
	ds_read_b128 v[2:5], v2 offset:2832
	s_waitcnt lgkmcnt(0)
	global_store_dwordx4 v[0:1], v[2:5], off offset:3072
.LBB0_20:
	s_endpgm
	.section	.rodata,"a",@progbits
	.p2align	6, 0x0
	.amdhsa_kernel fft_rtc_back_len192_factors_6_4_4_2_wgs_128_tpt_16_halfLds_dp_op_CI_CI_unitstride_sbrr_R2C_dirReg
		.amdhsa_group_segment_fixed_size 0
		.amdhsa_private_segment_fixed_size 0
		.amdhsa_kernarg_size 104
		.amdhsa_user_sgpr_count 6
		.amdhsa_user_sgpr_private_segment_buffer 1
		.amdhsa_user_sgpr_dispatch_ptr 0
		.amdhsa_user_sgpr_queue_ptr 0
		.amdhsa_user_sgpr_kernarg_segment_ptr 1
		.amdhsa_user_sgpr_dispatch_id 0
		.amdhsa_user_sgpr_flat_scratch_init 0
		.amdhsa_user_sgpr_private_segment_size 0
		.amdhsa_uses_dynamic_stack 0
		.amdhsa_system_sgpr_private_segment_wavefront_offset 0
		.amdhsa_system_sgpr_workgroup_id_x 1
		.amdhsa_system_sgpr_workgroup_id_y 0
		.amdhsa_system_sgpr_workgroup_id_z 0
		.amdhsa_system_sgpr_workgroup_info 0
		.amdhsa_system_vgpr_workitem_id 0
		.amdhsa_next_free_vgpr 83
		.amdhsa_next_free_sgpr 28
		.amdhsa_reserve_vcc 1
		.amdhsa_reserve_flat_scratch 0
		.amdhsa_float_round_mode_32 0
		.amdhsa_float_round_mode_16_64 0
		.amdhsa_float_denorm_mode_32 3
		.amdhsa_float_denorm_mode_16_64 3
		.amdhsa_dx10_clamp 1
		.amdhsa_ieee_mode 1
		.amdhsa_fp16_overflow 0
		.amdhsa_exception_fp_ieee_invalid_op 0
		.amdhsa_exception_fp_denorm_src 0
		.amdhsa_exception_fp_ieee_div_zero 0
		.amdhsa_exception_fp_ieee_overflow 0
		.amdhsa_exception_fp_ieee_underflow 0
		.amdhsa_exception_fp_ieee_inexact 0
		.amdhsa_exception_int_div_zero 0
	.end_amdhsa_kernel
	.text
.Lfunc_end0:
	.size	fft_rtc_back_len192_factors_6_4_4_2_wgs_128_tpt_16_halfLds_dp_op_CI_CI_unitstride_sbrr_R2C_dirReg, .Lfunc_end0-fft_rtc_back_len192_factors_6_4_4_2_wgs_128_tpt_16_halfLds_dp_op_CI_CI_unitstride_sbrr_R2C_dirReg
                                        ; -- End function
	.section	.AMDGPU.csdata,"",@progbits
; Kernel info:
; codeLenInByte = 7672
; NumSgprs: 32
; NumVgprs: 83
; ScratchSize: 0
; MemoryBound: 0
; FloatMode: 240
; IeeeMode: 1
; LDSByteSize: 0 bytes/workgroup (compile time only)
; SGPRBlocks: 3
; VGPRBlocks: 20
; NumSGPRsForWavesPerEU: 32
; NumVGPRsForWavesPerEU: 83
; Occupancy: 3
; WaveLimiterHint : 1
; COMPUTE_PGM_RSRC2:SCRATCH_EN: 0
; COMPUTE_PGM_RSRC2:USER_SGPR: 6
; COMPUTE_PGM_RSRC2:TRAP_HANDLER: 0
; COMPUTE_PGM_RSRC2:TGID_X_EN: 1
; COMPUTE_PGM_RSRC2:TGID_Y_EN: 0
; COMPUTE_PGM_RSRC2:TGID_Z_EN: 0
; COMPUTE_PGM_RSRC2:TIDIG_COMP_CNT: 0
	.type	__hip_cuid_f7e5032679d2dba0,@object ; @__hip_cuid_f7e5032679d2dba0
	.section	.bss,"aw",@nobits
	.globl	__hip_cuid_f7e5032679d2dba0
__hip_cuid_f7e5032679d2dba0:
	.byte	0                               ; 0x0
	.size	__hip_cuid_f7e5032679d2dba0, 1

	.ident	"AMD clang version 19.0.0git (https://github.com/RadeonOpenCompute/llvm-project roc-6.4.0 25133 c7fe45cf4b819c5991fe208aaa96edf142730f1d)"
	.section	".note.GNU-stack","",@progbits
	.addrsig
	.addrsig_sym __hip_cuid_f7e5032679d2dba0
	.amdgpu_metadata
---
amdhsa.kernels:
  - .args:
      - .actual_access:  read_only
        .address_space:  global
        .offset:         0
        .size:           8
        .value_kind:     global_buffer
      - .offset:         8
        .size:           8
        .value_kind:     by_value
      - .actual_access:  read_only
        .address_space:  global
        .offset:         16
        .size:           8
        .value_kind:     global_buffer
      - .actual_access:  read_only
        .address_space:  global
        .offset:         24
        .size:           8
        .value_kind:     global_buffer
      - .actual_access:  read_only
        .address_space:  global
        .offset:         32
        .size:           8
        .value_kind:     global_buffer
      - .offset:         40
        .size:           8
        .value_kind:     by_value
      - .actual_access:  read_only
        .address_space:  global
        .offset:         48
        .size:           8
        .value_kind:     global_buffer
      - .actual_access:  read_only
        .address_space:  global
        .offset:         56
        .size:           8
        .value_kind:     global_buffer
      - .offset:         64
        .size:           4
        .value_kind:     by_value
      - .actual_access:  read_only
        .address_space:  global
        .offset:         72
        .size:           8
        .value_kind:     global_buffer
      - .actual_access:  read_only
        .address_space:  global
        .offset:         80
        .size:           8
        .value_kind:     global_buffer
      - .actual_access:  read_only
        .address_space:  global
        .offset:         88
        .size:           8
        .value_kind:     global_buffer
      - .actual_access:  write_only
        .address_space:  global
        .offset:         96
        .size:           8
        .value_kind:     global_buffer
    .group_segment_fixed_size: 0
    .kernarg_segment_align: 8
    .kernarg_segment_size: 104
    .language:       OpenCL C
    .language_version:
      - 2
      - 0
    .max_flat_workgroup_size: 128
    .name:           fft_rtc_back_len192_factors_6_4_4_2_wgs_128_tpt_16_halfLds_dp_op_CI_CI_unitstride_sbrr_R2C_dirReg
    .private_segment_fixed_size: 0
    .sgpr_count:     32
    .sgpr_spill_count: 0
    .symbol:         fft_rtc_back_len192_factors_6_4_4_2_wgs_128_tpt_16_halfLds_dp_op_CI_CI_unitstride_sbrr_R2C_dirReg.kd
    .uniform_work_group_size: 1
    .uses_dynamic_stack: false
    .vgpr_count:     83
    .vgpr_spill_count: 0
    .wavefront_size: 64
amdhsa.target:   amdgcn-amd-amdhsa--gfx906
amdhsa.version:
  - 1
  - 2
...

	.end_amdgpu_metadata
